;; amdgpu-corpus repo=ROCm/rocFFT kind=compiled arch=gfx906 opt=O3
	.text
	.amdgcn_target "amdgcn-amd-amdhsa--gfx906"
	.amdhsa_code_object_version 6
	.protected	bluestein_single_back_len66_dim1_dp_op_CI_CI ; -- Begin function bluestein_single_back_len66_dim1_dp_op_CI_CI
	.globl	bluestein_single_back_len66_dim1_dp_op_CI_CI
	.p2align	8
	.type	bluestein_single_back_len66_dim1_dp_op_CI_CI,@function
bluestein_single_back_len66_dim1_dp_op_CI_CI: ; @bluestein_single_back_len66_dim1_dp_op_CI_CI
; %bb.0:
	v_mul_u32_u24_e32 v1, 0x1746, v0
	s_mov_b64 s[38:39], s[2:3]
	s_load_dwordx4 s[16:19], s[4:5], 0x28
	v_lshrrev_b32_e32 v1, 16, v1
	s_mov_b64 s[36:37], s[0:1]
	v_mad_u64_u32 v[108:109], s[0:1], s6, 23, v[1:2]
	v_mov_b32_e32 v109, 0
	s_add_u32 s36, s36, s7
	s_waitcnt lgkmcnt(0)
	v_cmp_gt_u64_e32 vcc, s[16:17], v[108:109]
	s_addc_u32 s37, s37, 0
	s_and_saveexec_b64 s[0:1], vcc
	s_cbranch_execz .LBB0_10
; %bb.1:
	s_load_dwordx4 s[0:3], s[4:5], 0x18
	s_load_dwordx4 s[8:11], s[4:5], 0x0
	v_mul_lo_u16_e32 v1, 11, v1
	v_sub_u16_e32 v251, v0, v1
	v_lshlrev_b32_e32 v254, 4, v251
	s_waitcnt lgkmcnt(0)
	s_load_dwordx4 s[12:15], s[0:1], 0x0
                                        ; implicit-def: $vgpr92_vgpr93
                                        ; implicit-def: $vgpr88_vgpr89
                                        ; implicit-def: $vgpr96_vgpr97
                                        ; implicit-def: $vgpr100_vgpr101
                                        ; implicit-def: $vgpr104_vgpr105
	s_waitcnt lgkmcnt(0)
	v_mad_u64_u32 v[0:1], s[0:1], s14, v108, 0
	v_mad_u64_u32 v[2:3], s[0:1], s12, v251, 0
	;; [unrolled: 1-line block ×3, first 2 shown]
	s_mov_b32 s15, 0xbfebb67a
	v_mad_u64_u32 v[5:6], s[0:1], s13, v251, v[3:4]
	v_mov_b32_e32 v1, v4
	v_lshlrev_b64 v[0:1], 4, v[0:1]
	v_mov_b32_e32 v6, s19
	v_mov_b32_e32 v3, v5
	v_add_co_u32_e32 v4, vcc, s18, v0
	v_addc_co_u32_e32 v5, vcc, v6, v1, vcc
	v_lshlrev_b64 v[0:1], 4, v[2:3]
	s_mul_i32 s0, s13, 0xb0
	v_add_co_u32_e32 v0, vcc, v4, v0
	s_mul_hi_u32 s1, s12, 0xb0
	v_addc_co_u32_e32 v1, vcc, v5, v1, vcc
	s_add_i32 s0, s1, s0
	s_mul_i32 s1, s12, 0xb0
	global_load_dwordx4 v[24:27], v[0:1], off
	v_mov_b32_e32 v2, s0
	v_add_co_u32_e32 v0, vcc, s1, v0
	v_addc_co_u32_e32 v1, vcc, v1, v2, vcc
	v_mov_b32_e32 v3, s0
	v_add_co_u32_e32 v2, vcc, s1, v0
	v_addc_co_u32_e32 v3, vcc, v1, v3, vcc
	global_load_dwordx4 v[20:23], v254, s[8:9]
	global_load_dwordx4 v[12:15], v254, s[8:9] offset:176
	global_load_dwordx4 v[28:31], v[0:1], off
	global_load_dwordx4 v[32:35], v[2:3], off
	v_mov_b32_e32 v1, s0
	v_add_co_u32_e32 v0, vcc, s1, v2
	v_addc_co_u32_e32 v1, vcc, v3, v1, vcc
	v_mov_b32_e32 v3, s0
	v_add_co_u32_e32 v2, vcc, s1, v0
	global_load_dwordx4 v[16:19], v254, s[8:9] offset:352
	global_load_dwordx4 v[4:7], v254, s[8:9] offset:528
	v_addc_co_u32_e32 v3, vcc, v1, v3, vcc
	global_load_dwordx4 v[36:39], v[0:1], off
	global_load_dwordx4 v[40:43], v[2:3], off
	v_mov_b32_e32 v0, s0
	v_add_co_u32_e32 v48, vcc, s1, v2
	v_addc_co_u32_e32 v49, vcc, v3, v0, vcc
	global_load_dwordx4 v[0:3], v254, s[8:9] offset:704
	global_load_dwordx4 v[8:11], v254, s[8:9] offset:880
	global_load_dwordx4 v[44:47], v[48:49], off
	s_mov_b32 s0, 0xb21642c9
	v_mul_hi_u32 v48, v108, s0
	s_load_dwordx2 s[12:13], s[4:5], 0x38
	s_mov_b32 s0, 0xe8584caa
	s_load_dwordx4 s[4:7], s[2:3], 0x0
	v_lshrrev_b32_e32 v48, 4, v48
	v_mul_lo_u32 v48, v48, 23
	s_mov_b32 s1, 0x3febb67a
	s_mov_b32 s14, s0
	v_add_co_u32_e32 v109, vcc, s8, v254
	v_sub_u32_e32 v48, v108, v48
	v_mul_u32_u24_e32 v72, 0x42, v48
	v_lshlrev_b32_e32 v253, 4, v72
	v_add_u32_e32 v252, v254, v253
	s_waitcnt vmcnt(10)
	v_mul_f64 v[48:49], v[26:27], v[22:23]
	v_mul_f64 v[50:51], v[24:25], v[22:23]
	s_waitcnt vmcnt(8)
	v_mul_f64 v[52:53], v[30:31], v[14:15]
	v_mul_f64 v[54:55], v[28:29], v[14:15]
	v_fma_f64 v[24:25], v[24:25], v[20:21], v[48:49]
	v_fma_f64 v[26:27], v[26:27], v[20:21], -v[50:51]
	s_waitcnt vmcnt(6)
	v_mul_f64 v[56:57], v[34:35], v[18:19]
	v_mul_f64 v[58:59], v[32:33], v[18:19]
	v_fma_f64 v[28:29], v[28:29], v[12:13], v[52:53]
	s_waitcnt vmcnt(4)
	v_mul_f64 v[60:61], v[38:39], v[6:7]
	v_mul_f64 v[62:63], v[36:37], v[6:7]
	v_fma_f64 v[30:31], v[30:31], v[12:13], -v[54:55]
	s_waitcnt vmcnt(2)
	v_mul_f64 v[64:65], v[42:43], v[2:3]
	v_mul_f64 v[66:67], v[40:41], v[2:3]
	s_waitcnt vmcnt(0)
	v_mul_f64 v[68:69], v[46:47], v[10:11]
	v_mul_f64 v[70:71], v[44:45], v[10:11]
	v_fma_f64 v[32:33], v[32:33], v[16:17], v[56:57]
	v_fma_f64 v[34:35], v[34:35], v[16:17], -v[58:59]
	v_fma_f64 v[36:37], v[36:37], v[4:5], v[60:61]
	v_fma_f64 v[38:39], v[38:39], v[4:5], -v[62:63]
	;; [unrolled: 2-line block ×4, first 2 shown]
	ds_write_b128 v252, v[24:27]
	ds_write_b128 v252, v[28:31] offset:176
	ds_write_b128 v252, v[32:35] offset:352
	;; [unrolled: 1-line block ×5, first 2 shown]
	s_waitcnt lgkmcnt(0)
	s_barrier
	ds_read_b128 v[24:27], v252 offset:352
	ds_read_b128 v[28:31], v252 offset:528
	;; [unrolled: 1-line block ×4, first 2 shown]
	ds_read_b128 v[40:43], v252
	ds_read_b128 v[44:47], v252 offset:176
	v_mov_b32_e32 v64, s9
	s_waitcnt lgkmcnt(3)
	v_add_f64 v[54:55], v[24:25], v[32:33]
	s_waitcnt lgkmcnt(2)
	v_add_f64 v[48:49], v[30:31], v[38:39]
	v_add_f64 v[50:51], v[28:29], v[36:37]
	v_add_f64 v[60:61], v[30:31], -v[38:39]
	v_add_f64 v[62:63], v[28:29], -v[36:37]
	s_waitcnt lgkmcnt(1)
	v_add_f64 v[52:53], v[40:41], v[24:25]
	v_add_f64 v[56:57], v[26:27], -v[34:35]
	v_add_f64 v[58:59], v[42:43], v[26:27]
	v_add_f64 v[26:27], v[26:27], v[34:35]
	s_waitcnt lgkmcnt(0)
	v_fma_f64 v[48:49], v[48:49], -0.5, v[46:47]
	v_fma_f64 v[50:51], v[50:51], -0.5, v[44:45]
	v_add_f64 v[28:29], v[44:45], v[28:29]
	v_add_f64 v[30:31], v[46:47], v[30:31]
	v_add_f64 v[24:25], v[24:25], -v[32:33]
	v_add_f64 v[32:33], v[52:53], v[32:33]
	v_fma_f64 v[40:41], v[54:55], -0.5, v[40:41]
	v_fma_f64 v[26:27], v[26:27], -0.5, v[42:43]
	v_fma_f64 v[44:45], v[62:63], s[14:15], v[48:49]
	v_fma_f64 v[46:47], v[60:61], s[14:15], v[50:51]
	;; [unrolled: 1-line block ×4, first 2 shown]
	v_add_f64 v[28:29], v[28:29], v[36:37]
	v_add_f64 v[30:31], v[30:31], v[38:39]
	;; [unrolled: 1-line block ×3, first 2 shown]
	v_fma_f64 v[54:55], v[56:57], s[0:1], v[40:41]
	v_mul_f64 v[36:37], v[44:45], s[0:1]
	v_mul_f64 v[38:39], v[46:47], -0.5
	v_mul_f64 v[42:43], v[50:51], s[14:15]
	v_mul_f64 v[52:53], v[48:49], -0.5
	v_fma_f64 v[40:41], v[56:57], s[14:15], v[40:41]
	v_fma_f64 v[56:57], v[24:25], s[14:15], v[26:27]
	;; [unrolled: 1-line block ×3, first 2 shown]
	v_addc_co_u32_e32 v110, vcc, 0, v64, vcc
	v_fma_f64 v[26:27], v[50:51], 0.5, v[36:37]
	v_fma_f64 v[36:37], v[48:49], s[0:1], v[38:39]
	v_fma_f64 v[38:39], v[44:45], 0.5, v[42:43]
	v_fma_f64 v[42:43], v[46:47], s[14:15], v[52:53]
	v_add_f64 v[68:69], v[32:33], v[28:29]
	v_add_f64 v[70:71], v[34:35], v[30:31]
	v_add_f64 v[76:77], v[32:33], -v[28:29]
	v_add_f64 v[78:79], v[34:35], -v[30:31]
	v_add_f64 v[64:65], v[54:55], v[26:27]
	v_add_f64 v[72:73], v[40:41], v[36:37]
	;; [unrolled: 1-line block ×4, first 2 shown]
	v_add_f64 v[80:81], v[54:55], -v[26:27]
	v_add_f64 v[84:85], v[40:41], -v[36:37]
	;; [unrolled: 1-line block ×4, first 2 shown]
	v_mul_lo_u16_e32 v24, 6, v251
	v_lshl_add_u32 v255, v24, 4, v253
	v_cmp_gt_u16_e32 vcc, 6, v251
	s_barrier
	ds_write_b128 v255, v[68:71]
	ds_write_b128 v255, v[64:67] offset:16
	ds_write_b128 v255, v[72:75] offset:32
	;; [unrolled: 1-line block ×5, first 2 shown]
	s_waitcnt lgkmcnt(0)
	s_barrier
	s_and_saveexec_b64 s[0:1], vcc
	s_cbranch_execz .LBB0_3
; %bb.2:
	ds_read_b128 v[68:71], v252
	ds_read_b128 v[64:67], v252 offset:96
	ds_read_b128 v[72:75], v252 offset:192
	;; [unrolled: 1-line block ×10, first 2 shown]
.LBB0_3:
	s_or_b64 exec, exec, s[0:1]
	v_add_u32_e32 v24, -6, v251
	v_cndmask_b32_e32 v24, v24, v251, vcc
	v_mul_hi_i32_i24_e32 v25, 10, v24
	v_mul_i32_i24_e32 v24, 10, v24
	v_lshlrev_b64 v[24:25], 4, v[24:25]
	v_mov_b32_e32 v26, s11
	v_add_co_u32_e64 v111, s[0:1], s10, v24
	v_addc_co_u32_e64 v112, s[0:1], v26, v25, s[0:1]
	global_load_dwordx4 v[28:31], v[111:112], off
	global_load_dwordx4 v[24:27], v[111:112], off offset:16
	global_load_dwordx4 v[36:39], v[111:112], off offset:32
	;; [unrolled: 1-line block ×9, first 2 shown]
	s_mov_b32 s16, 0xf8bb580b
	s_mov_b32 s17, 0xbfe14ced
	;; [unrolled: 1-line block ×26, first 2 shown]
	s_waitcnt vmcnt(9) lgkmcnt(9)
	v_mul_f64 v[111:112], v[66:67], v[30:31]
	v_mul_f64 v[113:114], v[64:65], v[30:31]
	s_waitcnt vmcnt(8) lgkmcnt(8)
	v_mul_f64 v[117:118], v[72:73], v[26:27]
	v_mul_f64 v[115:116], v[74:75], v[26:27]
	s_waitcnt vmcnt(7) lgkmcnt(7)
	v_mul_f64 v[123:124], v[76:77], v[38:39]
	s_waitcnt vmcnt(4) lgkmcnt(4)
	v_mul_f64 v[143:144], v[94:95], v[58:59]
	v_mul_f64 v[141:142], v[84:85], v[62:63]
	;; [unrolled: 1-line block ×3, first 2 shown]
	v_fma_f64 v[137:138], v[64:65], v[28:29], -v[111:112]
	s_waitcnt vmcnt(0) lgkmcnt(0)
	v_mul_f64 v[159:160], v[104:105], v[46:47]
	v_mul_f64 v[155:156], v[106:107], v[46:47]
	v_fma_f64 v[139:140], v[66:67], v[28:29], v[113:114]
	v_mul_f64 v[64:65], v[100:101], v[34:35]
	v_mul_f64 v[151:152], v[96:97], v[50:51]
	;; [unrolled: 1-line block ×3, first 2 shown]
	v_fma_f64 v[163:164], v[74:75], v[24:25], v[117:118]
	v_fma_f64 v[111:112], v[92:93], v[56:57], -v[143:144]
	v_fma_f64 v[106:107], v[106:107], v[44:45], v[159:160]
	v_fma_f64 v[104:105], v[104:105], v[44:45], -v[155:156]
	v_mul_f64 v[119:120], v[78:79], v[38:39]
	v_fma_f64 v[92:93], v[102:103], v[32:33], v[64:65]
	v_mul_f64 v[131:132], v[80:81], v[42:43]
	v_mul_f64 v[133:134], v[86:87], v[62:63]
	;; [unrolled: 1-line block ×3, first 2 shown]
	v_fma_f64 v[161:162], v[72:73], v[24:25], -v[115:116]
	v_add_f64 v[171:172], v[139:140], -v[106:107]
	v_fma_f64 v[135:136], v[78:79], v[36:37], v[123:124]
	v_fma_f64 v[115:116], v[86:87], v[60:61], v[141:142]
	v_fma_f64 v[100:101], v[100:101], v[32:33], -v[153:154]
	v_add_f64 v[86:87], v[137:138], -v[104:105]
	v_fma_f64 v[102:103], v[94:95], v[56:57], v[145:146]
	v_fma_f64 v[94:95], v[98:99], v[48:49], v[151:152]
	v_add_f64 v[153:154], v[137:138], v[104:105]
	v_add_f64 v[175:176], v[163:164], -v[92:93]
	v_mul_f64 v[177:178], v[171:172], s[16:17]
	v_mul_f64 v[147:148], v[90:91], v[54:55]
	;; [unrolled: 1-line block ×3, first 2 shown]
	v_fma_f64 v[127:128], v[76:77], v[36:37], -v[119:120]
	v_fma_f64 v[119:120], v[82:83], v[40:41], v[131:132]
	v_fma_f64 v[113:114], v[84:85], v[60:61], -v[133:134]
	v_add_f64 v[155:156], v[139:140], v[106:107]
	v_add_f64 v[169:170], v[161:162], -v[100:101]
	v_mul_f64 v[131:132], v[86:87], s[16:17]
	v_fma_f64 v[96:97], v[96:97], v[48:49], -v[149:150]
	v_add_f64 v[149:150], v[161:162], v[100:101]
	v_add_f64 v[84:85], v[135:136], -v[94:95]
	v_mul_f64 v[129:130], v[175:176], s[14:15]
	v_fma_f64 v[64:65], v[153:154], s[2:3], v[177:178]
	v_mul_f64 v[125:126], v[82:83], v[42:43]
	v_add_f64 v[151:152], v[163:164], v[92:93]
	v_mul_f64 v[133:134], v[169:170], s[14:15]
	v_fma_f64 v[66:67], v[155:156], s[2:3], -v[131:132]
	v_fma_f64 v[88:89], v[88:89], v[52:53], -v[147:148]
	v_fma_f64 v[90:91], v[90:91], v[52:53], v[157:158]
	v_add_f64 v[147:148], v[127:128], v[96:97]
	v_mul_f64 v[121:122], v[84:85], s[10:11]
	v_fma_f64 v[72:73], v[149:150], s[0:1], v[129:130]
	v_add_f64 v[64:65], v[68:69], v[64:65]
	v_add_f64 v[239:240], v[127:128], -v[96:97]
	v_fma_f64 v[117:118], v[80:81], v[40:41], -v[125:126]
	v_fma_f64 v[74:75], v[151:152], s[0:1], -v[133:134]
	v_add_f64 v[66:67], v[70:71], v[66:67]
	v_add_f64 v[191:192], v[135:136], v[94:95]
	v_add_f64 v[241:242], v[119:120], -v[90:91]
	v_add_f64 v[183:184], v[119:120], v[90:91]
	v_add_f64 v[64:65], v[72:73], v[64:65]
	v_fma_f64 v[72:73], v[147:148], s[18:19], v[121:122]
	v_mul_f64 v[141:142], v[239:240], s[10:11]
	v_add_f64 v[181:182], v[117:118], v[88:89]
	v_add_f64 v[66:67], v[74:75], v[66:67]
	v_add_f64 v[243:244], v[117:118], -v[88:89]
	v_mul_f64 v[143:144], v[241:242], s[24:25]
	v_add_f64 v[98:99], v[115:116], -v[102:103]
	v_add_f64 v[179:180], v[113:114], v[111:112]
	v_add_f64 v[64:65], v[72:73], v[64:65]
	v_fma_f64 v[72:73], v[191:192], s[18:19], -v[141:142]
	v_add_f64 v[123:124], v[113:114], -v[111:112]
	v_add_f64 v[189:190], v[115:116], v[102:103]
	v_mul_f64 v[145:146], v[243:244], s[24:25]
	v_mul_f64 v[165:166], v[171:172], s[14:15]
	;; [unrolled: 1-line block ×5, first 2 shown]
	v_add_f64 v[66:67], v[72:73], v[66:67]
	v_fma_f64 v[72:73], v[181:182], s[20:21], v[143:144]
	v_mul_f64 v[159:160], v[123:124], s[26:27]
	v_mul_f64 v[125:126], v[239:240], s[34:35]
	v_mul_f64 v[185:186], v[241:242], s[28:29]
	v_mul_f64 v[193:194], v[243:244], s[28:29]
	v_fma_f64 v[74:75], v[149:150], s[20:21], v[167:168]
	v_fma_f64 v[76:77], v[151:152], s[20:21], -v[173:174]
	v_mul_f64 v[187:188], v[98:99], s[30:31]
	v_add_f64 v[64:65], v[72:73], v[64:65]
	v_fma_f64 v[72:73], v[183:184], s[20:21], -v[145:146]
	v_mul_f64 v[195:196], v[123:124], s[30:31]
	v_mul_f64 v[199:200], v[171:172], s[10:11]
	v_mul_f64 v[197:198], v[175:176], s[34:35]
	v_mul_f64 v[213:214], v[86:87], s[10:11]
	v_mul_f64 v[215:216], v[169:170], s[34:35]
	v_mul_f64 v[203:204], v[241:242], s[16:17]
	v_mul_f64 v[211:212], v[243:244], s[16:17]
	v_add_f64 v[66:67], v[72:73], v[66:67]
	v_fma_f64 v[72:73], v[179:180], s[22:23], v[157:158]
	v_mul_f64 v[205:206], v[98:99], s[24:25]
	v_fma_f64 v[78:79], v[149:150], s[22:23], v[197:198]
	v_mul_f64 v[209:210], v[123:124], s[24:25]
	v_fma_f64 v[80:81], v[151:152], s[22:23], -v[215:216]
	v_mul_f64 v[223:224], v[171:172], s[24:25]
	v_mul_f64 v[217:218], v[175:176], s[28:29]
	;; [unrolled: 1-line block ×3, first 2 shown]
	v_add_f64 v[64:65], v[72:73], v[64:65]
	v_fma_f64 v[72:73], v[189:190], s[22:23], -v[159:160]
	v_mul_f64 v[233:234], v[169:170], s[28:29]
	v_mul_f64 v[225:226], v[84:85], s[16:17]
	;; [unrolled: 1-line block ×4, first 2 shown]
	v_fma_f64 v[82:83], v[149:150], s[18:19], v[217:218]
	v_mul_f64 v[249:250], v[86:87], s[26:27]
	v_mul_f64 v[247:248], v[169:170], s[30:31]
	v_add_f64 v[66:67], v[72:73], v[66:67]
	v_fma_f64 v[72:73], v[153:154], s[0:1], v[165:166]
	v_fma_f64 v[219:220], v[151:152], s[18:19], -v[233:234]
	v_fma_f64 v[169:170], v[151:152], s[2:3], -v[247:248]
	v_add_f64 v[72:73], v[68:69], v[72:73]
	v_add_f64 v[72:73], v[74:75], v[72:73]
	v_mul_f64 v[74:75], v[86:87], s[14:15]
	buffer_store_dword v74, off, s[36:39], 0 ; 4-byte Folded Spill
	s_nop 0
	buffer_store_dword v75, off, s[36:39], 0 offset:4 ; 4-byte Folded Spill
	s_mov_b32 s15, 0x3fed1bb4
	v_mul_f64 v[201:202], v[84:85], s[14:15]
	v_mul_f64 v[207:208], v[239:240], s[14:15]
	v_fma_f64 v[86:87], v[155:156], s[22:23], -v[249:250]
	v_add_f64 v[86:87], v[70:71], v[86:87]
	v_add_f64 v[86:87], v[169:170], v[86:87]
	v_mul_f64 v[169:170], v[84:85], s[24:25]
	v_fma_f64 v[74:75], v[155:156], s[0:1], -v[74:75]
	v_add_f64 v[74:75], v[70:71], v[74:75]
	v_add_f64 v[74:75], v[76:77], v[74:75]
	v_mul_f64 v[76:77], v[84:85], s[34:35]
	buffer_store_dword v76, off, s[36:39], 0 offset:8 ; 4-byte Folded Spill
	s_nop 0
	buffer_store_dword v77, off, s[36:39], 0 offset:12 ; 4-byte Folded Spill
	v_fma_f64 v[84:85], v[147:148], s[20:21], v[169:170]
	v_fma_f64 v[76:77], v[147:148], s[22:23], v[76:77]
	v_add_f64 v[72:73], v[76:77], v[72:73]
	v_fma_f64 v[76:77], v[191:192], s[22:23], -v[125:126]
	v_add_f64 v[74:75], v[76:77], v[74:75]
	v_fma_f64 v[76:77], v[181:182], s[18:19], v[185:186]
	v_add_f64 v[72:73], v[76:77], v[72:73]
	v_fma_f64 v[76:77], v[183:184], s[18:19], -v[193:194]
	v_add_f64 v[74:75], v[76:77], v[74:75]
	;; [unrolled: 4-line block ×3, first 2 shown]
	v_fma_f64 v[76:77], v[153:154], s[18:19], v[199:200]
	v_add_f64 v[76:77], v[68:69], v[76:77]
	v_add_f64 v[76:77], v[78:79], v[76:77]
	v_fma_f64 v[78:79], v[155:156], s[18:19], -v[213:214]
	v_add_f64 v[78:79], v[70:71], v[78:79]
	v_add_f64 v[78:79], v[80:81], v[78:79]
	v_fma_f64 v[80:81], v[147:148], s[0:1], v[201:202]
	v_add_f64 v[76:77], v[80:81], v[76:77]
	v_fma_f64 v[80:81], v[191:192], s[0:1], -v[207:208]
	v_add_f64 v[78:79], v[80:81], v[78:79]
	v_fma_f64 v[80:81], v[181:182], s[2:3], v[203:204]
	v_add_f64 v[76:77], v[80:81], v[76:77]
	v_fma_f64 v[80:81], v[183:184], s[2:3], -v[211:212]
	;; [unrolled: 4-line block ×3, first 2 shown]
	v_add_f64 v[78:79], v[80:81], v[78:79]
	v_fma_f64 v[80:81], v[153:154], s[20:21], v[223:224]
	v_add_f64 v[80:81], v[68:69], v[80:81]
	v_add_f64 v[80:81], v[82:83], v[80:81]
	v_fma_f64 v[82:83], v[155:156], s[20:21], -v[235:236]
	v_add_f64 v[82:83], v[70:71], v[82:83]
	v_add_f64 v[82:83], v[219:220], v[82:83]
	v_fma_f64 v[219:220], v[147:148], s[2:3], v[225:226]
	v_add_f64 v[80:81], v[219:220], v[80:81]
	v_fma_f64 v[219:220], v[191:192], s[2:3], -v[231:232]
	v_add_f64 v[82:83], v[219:220], v[82:83]
	v_mul_f64 v[219:220], v[241:242], s[26:27]
	v_fma_f64 v[221:222], v[181:182], s[22:23], v[219:220]
	v_add_f64 v[80:81], v[221:222], v[80:81]
	v_fma_f64 v[221:222], v[183:184], s[22:23], -v[229:230]
	v_add_f64 v[82:83], v[221:222], v[82:83]
	v_mul_f64 v[221:222], v[98:99], s[14:15]
	v_fma_f64 v[227:228], v[179:180], s[0:1], v[221:222]
	v_add_f64 v[80:81], v[227:228], v[80:81]
	v_mul_f64 v[227:228], v[123:124], s[14:15]
	v_fma_f64 v[237:238], v[189:190], s[0:1], -v[227:228]
	v_add_f64 v[82:83], v[237:238], v[82:83]
	v_mul_f64 v[237:238], v[171:172], s[26:27]
	v_mul_f64 v[171:172], v[175:176], s[30:31]
	v_fma_f64 v[175:176], v[153:154], s[22:23], v[237:238]
	v_fma_f64 v[245:246], v[149:150], s[2:3], v[171:172]
	v_add_f64 v[175:176], v[68:69], v[175:176]
	v_add_f64 v[175:176], v[245:246], v[175:176]
	v_mul_f64 v[245:246], v[239:240], s[24:25]
	v_mul_f64 v[239:240], v[241:242], s[14:15]
	;; [unrolled: 1-line block ×4, first 2 shown]
	v_add_f64 v[84:85], v[84:85], v[175:176]
	v_fma_f64 v[175:176], v[191:192], s[20:21], -v[245:246]
	v_add_f64 v[86:87], v[175:176], v[86:87]
	v_fma_f64 v[175:176], v[181:182], s[0:1], v[239:240]
	v_add_f64 v[84:85], v[175:176], v[84:85]
	v_fma_f64 v[175:176], v[183:184], s[0:1], -v[241:242]
	v_add_f64 v[86:87], v[175:176], v[86:87]
	v_mul_f64 v[175:176], v[98:99], s[10:11]
	v_fma_f64 v[98:99], v[179:180], s[18:19], v[175:176]
	v_add_f64 v[84:85], v[98:99], v[84:85]
	v_fma_f64 v[98:99], v[189:190], s[18:19], -v[243:244]
	v_add_f64 v[86:87], v[98:99], v[86:87]
	s_and_saveexec_b64 s[10:11], vcc
	s_cbranch_execz .LBB0_5
; %bb.4:
	v_mul_f64 v[98:99], v[153:154], s[2:3]
	v_mov_b32_e32 v123, v131
	v_mov_b32_e32 v124, v132
	v_mul_f64 v[131:132], v[155:156], s[0:1]
	v_add_f64 v[137:138], v[68:69], v[137:138]
	v_add_f64 v[139:140], v[70:71], v[139:140]
	buffer_store_dword v98, off, s[36:39], 0 offset:96 ; 4-byte Folded Spill
	s_nop 0
	buffer_store_dword v99, off, s[36:39], 0 offset:100 ; 4-byte Folded Spill
	v_mul_f64 v[98:99], v[155:156], s[2:3]
	buffer_store_dword v98, off, s[36:39], 0 offset:128 ; 4-byte Folded Spill
	s_nop 0
	buffer_store_dword v99, off, s[36:39], 0 offset:132 ; 4-byte Folded Spill
	v_mul_f64 v[98:99], v[153:154], s[0:1]
	;; [unrolled: 4-line block ×3, first 2 shown]
	buffer_store_dword v133, off, s[36:39], 0 offset:104 ; 4-byte Folded Spill
	s_nop 0
	buffer_store_dword v134, off, s[36:39], 0 offset:108 ; 4-byte Folded Spill
	buffer_store_dword v141, off, s[36:39], 0 offset:72 ; 4-byte Folded Spill
	s_nop 0
	buffer_store_dword v142, off, s[36:39], 0 offset:76 ; 4-byte Folded Spill
	;; [unrolled: 3-line block ×5, first 2 shown]
	v_mul_f64 v[143:144], v[153:154], s[20:21]
	v_mul_f64 v[141:142], v[155:156], s[18:19]
	buffer_store_dword v98, off, s[36:39], 0 offset:120 ; 4-byte Folded Spill
	s_nop 0
	buffer_store_dword v99, off, s[36:39], 0 offset:124 ; 4-byte Folded Spill
	buffer_store_dword v104, off, s[36:39], 0 offset:24 ; 4-byte Folded Spill
	s_nop 0
	buffer_store_dword v105, off, s[36:39], 0 offset:28 ; 4-byte Folded Spill
	v_mul_f64 v[98:99], v[151:152], s[0:1]
	v_mul_f64 v[145:146], v[155:156], s[20:21]
	;; [unrolled: 1-line block ×3, first 2 shown]
	v_mov_b32_e32 v106, v115
	v_mul_f64 v[133:134], v[153:154], s[18:19]
	v_add_f64 v[143:144], v[143:144], -v[223:224]
	v_add_f64 v[141:142], v[213:214], v[141:142]
	v_mul_f64 v[153:154], v[153:154], s[22:23]
	buffer_store_dword v98, off, s[36:39], 0 offset:152 ; 4-byte Folded Spill
	s_nop 0
	buffer_store_dword v99, off, s[36:39], 0 offset:156 ; 4-byte Folded Spill
	v_mul_f64 v[98:99], v[149:150], s[20:21]
	v_add_f64 v[155:156], v[249:250], v[155:156]
	v_mov_b32_e32 v107, v116
	v_mul_f64 v[115:116], v[191:192], s[22:23]
	v_add_f64 v[143:144], v[68:69], v[143:144]
	v_add_f64 v[145:146], v[235:236], v[145:146]
	v_mul_f64 v[249:250], v[183:184], s[20:21]
	v_mul_f64 v[235:236], v[183:184], s[22:23]
	buffer_store_dword v98, off, s[36:39], 0 offset:160 ; 4-byte Folded Spill
	s_nop 0
	buffer_store_dword v99, off, s[36:39], 0 offset:164 ; 4-byte Folded Spill
	buffer_store_dword v92, off, s[36:39], 0 offset:40 ; 4-byte Folded Spill
	s_nop 0
	buffer_store_dword v93, off, s[36:39], 0 offset:44 ; 4-byte Folded Spill
	v_mul_f64 v[98:99], v[147:148], s[18:19]
	buffer_store_dword v100, off, s[36:39], 0 offset:48 ; 4-byte Folded Spill
	s_nop 0
	buffer_store_dword v101, off, s[36:39], 0 offset:52 ; 4-byte Folded Spill
	buffer_store_dword v159, off, s[36:39], 0 offset:64 ; 4-byte Folded Spill
	s_nop 0
	buffer_store_dword v160, off, s[36:39], 0 offset:68 ; 4-byte Folded Spill
	;; [unrolled: 3-line block ×5, first 2 shown]
	v_mul_f64 v[94:95], v[149:150], s[18:19]
	v_mov_b32_e32 v111, v165
	buffer_store_dword v98, off, s[36:39], 0 offset:136 ; 4-byte Folded Spill
	s_nop 0
	buffer_store_dword v99, off, s[36:39], 0 offset:140 ; 4-byte Folded Spill
	buffer_store_dword v102, off, s[36:39], 0 offset:208 ; 4-byte Folded Spill
	s_nop 0
	buffer_store_dword v103, off, s[36:39], 0 offset:212 ; 4-byte Folded Spill
	v_mul_f64 v[98:99], v[191:192], s[18:19]
	v_mov_b32_e32 v112, v166
	v_mov_b32_e32 v166, v120
	;; [unrolled: 1-line block ×3, first 2 shown]
	v_mul_f64 v[119:120], v[147:148], s[2:3]
	v_add_f64 v[94:95], v[94:95], -v[217:218]
	v_mul_f64 v[92:93], v[151:152], s[20:21]
	v_mul_f64 v[159:160], v[151:152], s[22:23]
	buffer_store_dword v98, off, s[36:39], 0 offset:168 ; 4-byte Folded Spill
	s_nop 0
	buffer_store_dword v99, off, s[36:39], 0 offset:172 ; 4-byte Folded Spill
	v_mul_f64 v[98:99], v[147:148], s[22:23]
	v_mul_f64 v[96:97], v[151:152], s[18:19]
	;; [unrolled: 1-line block ×3, first 2 shown]
	v_add_f64 v[119:120], v[119:120], -v[225:226]
	v_add_f64 v[94:95], v[94:95], v[143:144]
	v_mul_f64 v[143:144], v[179:180], s[0:1]
	v_add_f64 v[155:156], v[70:71], v[155:156]
	v_mul_f64 v[100:101], v[149:150], s[22:23]
	buffer_store_dword v98, off, s[36:39], 0 offset:184 ; 4-byte Folded Spill
	s_nop 0
	buffer_store_dword v99, off, s[36:39], 0 offset:188 ; 4-byte Folded Spill
	buffer_store_dword v177, off, s[36:39], 0 offset:216 ; 4-byte Folded Spill
	s_nop 0
	buffer_store_dword v178, off, s[36:39], 0 offset:220 ; 4-byte Folded Spill
	v_mul_f64 v[98:99], v[181:182], s[20:21]
	buffer_store_dword v88, off, s[36:39], 0 offset:176 ; 4-byte Folded Spill
	s_nop 0
	buffer_store_dword v89, off, s[36:39], 0 offset:180 ; 4-byte Folded Spill
	buffer_store_dword v90, off, s[36:39], 0 offset:200 ; 4-byte Folded Spill
	s_nop 0
	buffer_store_dword v91, off, s[36:39], 0 offset:204 ; 4-byte Folded Spill
	v_add_f64 v[94:95], v[119:120], v[94:95]
	v_add_f64 v[119:120], v[70:71], v[141:142]
	v_add_f64 v[141:142], v[143:144], -v[221:222]
	v_mul_f64 v[88:89], v[191:192], s[0:1]
	v_mul_f64 v[90:91], v[191:192], s[2:3]
	buffer_store_dword v98, off, s[36:39], 0 offset:144 ; 4-byte Folded Spill
	s_nop 0
	buffer_store_dword v99, off, s[36:39], 0 offset:148 ; 4-byte Folded Spill
	buffer_store_dword v157, off, s[36:39], 0 offset:224 ; 4-byte Folded Spill
	s_nop 0
	buffer_store_dword v158, off, s[36:39], 0 offset:228 ; 4-byte Folded Spill
	buffer_load_dword v143, off, s[36:39], 0 ; 4-byte Folded Reload
	buffer_load_dword v144, off, s[36:39], 0 offset:4 ; 4-byte Folded Reload
	v_mul_f64 v[191:192], v[191:192], s[20:21]
	v_add_f64 v[151:152], v[247:248], v[151:152]
	v_mov_b32_e32 v178, v136
	v_mul_f64 v[149:150], v[149:150], s[2:3]
	v_mul_f64 v[98:99], v[183:184], s[18:19]
	v_mov_b32_e32 v177, v135
	v_mul_f64 v[135:136], v[183:184], s[2:3]
	v_mul_f64 v[183:184], v[183:184], s[0:1]
	v_add_f64 v[191:192], v[245:246], v[191:192]
	v_add_f64 v[153:154], v[153:154], -v[237:238]
	v_add_f64 v[151:152], v[151:152], v[155:156]
	v_add_f64 v[96:97], v[233:234], v[96:97]
	;; [unrolled: 1-line block ×3, first 2 shown]
	v_mov_b32_e32 v104, v117
	v_mov_b32_e32 v105, v118
	v_mul_f64 v[117:118], v[147:148], s[0:1]
	v_mul_f64 v[147:148], v[147:148], s[20:21]
	;; [unrolled: 1-line block ×4, first 2 shown]
	v_add_f64 v[149:150], v[149:150], -v[171:172]
	v_add_f64 v[90:91], v[231:232], v[90:91]
	v_mul_f64 v[231:232], v[189:190], s[20:21]
	v_add_f64 v[153:154], v[68:69], v[153:154]
	v_mul_f64 v[223:224], v[189:190], s[0:1]
	;; [unrolled: 2-line block ×3, first 2 shown]
	v_add_f64 v[183:184], v[241:242], v[183:184]
	v_add_f64 v[151:152], v[191:192], v[151:152]
	v_mul_f64 v[247:248], v[181:182], s[22:23]
	v_add_f64 v[147:148], v[147:148], -v[169:170]
	v_add_f64 v[149:150], v[149:150], v[153:154]
	v_add_f64 v[100:101], v[100:101], -v[197:198]
	v_add_f64 v[90:91], v[90:91], v[96:97]
	v_add_f64 v[96:97], v[243:244], v[189:190]
	v_mov_b32_e32 v102, v129
	v_add_f64 v[151:152], v[183:184], v[151:152]
	v_mul_f64 v[157:158], v[181:182], s[18:19]
	v_mov_b32_e32 v103, v130
	v_add_f64 v[149:150], v[147:148], v[149:150]
	v_mul_f64 v[129:130], v[181:182], s[2:3]
	v_mul_f64 v[181:182], v[181:182], s[0:1]
	v_add_f64 v[153:154], v[229:230], v[235:236]
	v_add_f64 v[88:89], v[207:208], v[88:89]
	;; [unrolled: 1-line block ×3, first 2 shown]
	v_add_f64 v[96:97], v[247:248], -v[219:220]
	v_add_f64 v[92:93], v[173:174], v[92:93]
	v_mul_f64 v[245:246], v[179:180], s[22:23]
	v_add_f64 v[117:118], v[117:118], -v[201:202]
	v_add_f64 v[169:170], v[181:182], -v[239:240]
	v_add_f64 v[181:182], v[227:228], v[223:224]
	v_add_f64 v[90:91], v[153:154], v[90:91]
	v_mul_f64 v[155:156], v[179:180], s[2:3]
	v_mul_f64 v[171:172], v[179:180], s[20:21]
	;; [unrolled: 1-line block ×3, first 2 shown]
	v_add_f64 v[153:154], v[169:170], v[149:150]
	v_add_f64 v[151:152], v[181:182], v[90:91]
	;; [unrolled: 1-line block ×3, first 2 shown]
	v_add_f64 v[145:146], v[145:146], -v[175:176]
	v_add_f64 v[90:91], v[90:91], v[119:120]
	v_add_f64 v[119:120], v[137:138], v[161:162]
	v_add_f64 v[145:146], v[145:146], v[153:154]
	v_add_f64 v[88:89], v[88:89], v[90:91]
	v_add_f64 v[90:91], v[125:126], v[115:116]
	v_add_f64 v[115:116], v[119:120], v[127:128]
	v_add_f64 v[119:120], v[209:210], v[231:232]
	s_waitcnt vmcnt(0)
	v_add_f64 v[131:132], v[143:144], v[131:132]
	v_add_f64 v[143:144], v[96:97], v[94:95]
	v_add_f64 v[94:95], v[133:134], -v[199:200]
	v_add_f64 v[96:97], v[139:140], v[163:164]
	v_add_f64 v[133:134], v[211:212], v[135:136]
	v_add_f64 v[127:128], v[171:172], -v[205:206]
	v_add_f64 v[115:116], v[115:116], v[104:105]
	v_add_f64 v[131:132], v[70:71], v[131:132]
	;; [unrolled: 1-line block ×10, first 2 shown]
	buffer_load_dword v98, off, s[36:39], 0 offset:128 ; 4-byte Folded Reload
	buffer_load_dword v99, off, s[36:39], 0 offset:132 ; 4-byte Folded Reload
	v_add_f64 v[96:97], v[96:97], v[165:166]
	v_add_f64 v[90:91], v[90:91], v[92:93]
	v_add_f64 v[92:93], v[129:130], -v[203:204]
	v_add_f64 v[94:95], v[117:118], v[94:95]
	v_add_f64 v[117:118], v[195:196], v[233:234]
	;; [unrolled: 1-line block ×5, first 2 shown]
	s_waitcnt vmcnt(0)
	v_add_f64 v[123:124], v[123:124], v[98:99]
	buffer_load_dword v98, off, s[36:39], 0 offset:96 ; 4-byte Folded Reload
	buffer_load_dword v99, off, s[36:39], 0 offset:100 ; 4-byte Folded Reload
	;; [unrolled: 1-line block ×4, first 2 shown]
	v_add_f64 v[70:71], v[70:71], v[123:124]
	s_waitcnt vmcnt(0)
	v_add_f64 v[100:101], v[98:99], -v[100:101]
	buffer_load_dword v98, off, s[36:39], 0 offset:112 ; 4-byte Folded Reload
	buffer_load_dword v99, off, s[36:39], 0 offset:116 ; 4-byte Folded Reload
	v_add_f64 v[100:101], v[68:69], v[100:101]
	s_waitcnt vmcnt(0)
	v_add_f64 v[125:126], v[98:99], -v[111:112]
	buffer_load_dword v98, off, s[36:39], 0 offset:160 ; 4-byte Folded Reload
	buffer_load_dword v99, off, s[36:39], 0 offset:164 ; 4-byte Folded Reload
	;; [unrolled: 5-line block ×3, first 2 shown]
	buffer_load_dword v104, off, s[36:39], 0 offset:152 ; 4-byte Folded Reload
	buffer_load_dword v105, off, s[36:39], 0 offset:156 ; 4-byte Folded Reload
	v_add_f64 v[68:69], v[129:130], v[68:69]
	s_waitcnt vmcnt(0)
	v_add_f64 v[104:105], v[98:99], v[104:105]
	buffer_load_dword v98, off, s[36:39], 0 offset:208 ; 4-byte Folded Reload
	buffer_load_dword v99, off, s[36:39], 0 offset:212 ; 4-byte Folded Reload
	v_add_f64 v[70:71], v[104:105], v[70:71]
	s_waitcnt vmcnt(0)
	v_add_f64 v[96:97], v[96:97], v[98:99]
	buffer_load_dword v98, off, s[36:39], 0 offset:192 ; 4-byte Folded Reload
	buffer_load_dword v99, off, s[36:39], 0 offset:196 ; 4-byte Folded Reload
	s_waitcnt vmcnt(0)
	v_add_f64 v[115:116], v[115:116], v[98:99]
	buffer_load_dword v98, off, s[36:39], 0 offset:120 ; 4-byte Folded Reload
	buffer_load_dword v99, off, s[36:39], 0 offset:124 ; 4-byte Folded Reload
	s_waitcnt vmcnt(0)
	v_add_f64 v[106:107], v[98:99], -v[102:103]
	buffer_load_dword v98, off, s[36:39], 0 offset:8 ; 4-byte Folded Reload
	buffer_load_dword v99, off, s[36:39], 0 offset:12 ; 4-byte Folded Reload
	;; [unrolled: 1-line block ×4, first 2 shown]
	v_add_f64 v[100:101], v[106:107], v[100:101]
	v_add_f64 v[106:107], v[157:158], -v[185:186]
	s_waitcnt vmcnt(0)
	v_add_f64 v[113:114], v[102:103], -v[98:99]
	buffer_load_dword v98, off, s[36:39], 0 offset:72 ; 4-byte Folded Reload
	buffer_load_dword v99, off, s[36:39], 0 offset:76 ; 4-byte Folded Reload
	;; [unrolled: 1-line block ×4, first 2 shown]
	v_add_f64 v[68:69], v[113:114], v[68:69]
	v_add_f64 v[68:69], v[106:107], v[68:69]
	;; [unrolled: 1-line block ×3, first 2 shown]
	s_waitcnt vmcnt(0)
	v_add_f64 v[102:103], v[98:99], v[102:103]
	buffer_load_dword v98, off, s[36:39], 0 offset:200 ; 4-byte Folded Reload
	buffer_load_dword v99, off, s[36:39], 0 offset:204 ; 4-byte Folded Reload
	v_add_f64 v[70:71], v[102:103], v[70:71]
	s_waitcnt vmcnt(0)
	v_add_f64 v[96:97], v[96:97], v[98:99]
	buffer_load_dword v98, off, s[36:39], 0 offset:176 ; 4-byte Folded Reload
	buffer_load_dword v99, off, s[36:39], 0 offset:180 ; 4-byte Folded Reload
	s_waitcnt vmcnt(0)
	v_add_f64 v[104:105], v[115:116], v[98:99]
	buffer_load_dword v98, off, s[36:39], 0 offset:136 ; 4-byte Folded Reload
	buffer_load_dword v99, off, s[36:39], 0 offset:140 ; 4-byte Folded Reload
	s_waitcnt vmcnt(0)
	v_add_f64 v[111:112], v[98:99], -v[121:122]
	buffer_load_dword v98, off, s[36:39], 0 offset:56 ; 4-byte Folded Reload
	buffer_load_dword v99, off, s[36:39], 0 offset:60 ; 4-byte Folded Reload
	v_add_f64 v[100:101], v[111:112], v[100:101]
	s_waitcnt vmcnt(0)
	v_add_f64 v[115:116], v[98:99], v[249:250]
	buffer_load_dword v98, off, s[36:39], 0 offset:80 ; 4-byte Folded Reload
	buffer_load_dword v99, off, s[36:39], 0 offset:84 ; 4-byte Folded Reload
	v_add_f64 v[113:114], v[115:116], v[70:71]
	s_waitcnt vmcnt(0)
	v_add_f64 v[96:97], v[96:97], v[98:99]
	buffer_load_dword v98, off, s[36:39], 0 offset:88 ; 4-byte Folded Reload
	buffer_load_dword v99, off, s[36:39], 0 offset:92 ; 4-byte Folded Reload
	s_waitcnt vmcnt(0)
	v_add_f64 v[102:103], v[104:105], v[98:99]
	buffer_load_dword v98, off, s[36:39], 0 offset:32 ; 4-byte Folded Reload
	buffer_load_dword v99, off, s[36:39], 0 offset:36 ; 4-byte Folded Reload
	;; [unrolled: 1-line block ×8, first 2 shown]
	s_waitcnt vmcnt(4)
	v_add_f64 v[98:99], v[104:105], -v[98:99]
	s_waitcnt vmcnt(2)
	v_add_f64 v[111:112], v[111:112], v[237:238]
	s_waitcnt vmcnt(0)
	v_add_f64 v[96:97], v[96:97], v[70:71]
	buffer_load_dword v70, off, s[36:39], 0 offset:48 ; 4-byte Folded Reload
	buffer_load_dword v71, off, s[36:39], 0 offset:52 ; 4-byte Folded Reload
	v_add_f64 v[104:105], v[155:156], -v[187:188]
	v_add_f64 v[100:101], v[98:99], v[100:101]
	v_add_f64 v[98:99], v[111:112], v[113:114]
	s_waitcnt vmcnt(0)
	v_add_f64 v[102:103], v[102:103], v[70:71]
	buffer_load_dword v70, off, s[36:39], 0 offset:224 ; 4-byte Folded Reload
	buffer_load_dword v71, off, s[36:39], 0 offset:228 ; 4-byte Folded Reload
	s_waitcnt vmcnt(0)
	v_add_f64 v[115:116], v[245:246], -v[70:71]
	v_add_f64 v[70:71], v[119:120], v[88:89]
	buffer_load_dword v88, off, s[36:39], 0 offset:16 ; 4-byte Folded Reload
	buffer_load_dword v89, off, s[36:39], 0 offset:20 ; 4-byte Folded Reload
	s_waitcnt vmcnt(0)
	v_add_f64 v[94:95], v[96:97], v[88:89]
	buffer_load_dword v88, off, s[36:39], 0 offset:24 ; 4-byte Folded Reload
	buffer_load_dword v89, off, s[36:39], 0 offset:28 ; 4-byte Folded Reload
	v_add_f64 v[96:97], v[115:116], v[100:101]
	s_waitcnt vmcnt(0)
	v_add_f64 v[92:93], v[102:103], v[88:89]
	v_add_f64 v[88:89], v[104:105], v[68:69]
	;; [unrolled: 1-line block ×3, first 2 shown]
	ds_write_b128 v252, v[92:95]
	v_lshl_add_u32 v92, v251, 4, v253
	ds_write_b128 v92, v[96:99] offset:96
	ds_write_b128 v92, v[88:91] offset:192
	;; [unrolled: 1-line block ×10, first 2 shown]
.LBB0_5:
	s_or_b64 exec, exec, s[10:11]
	s_waitcnt vmcnt(0) lgkmcnt(0)
	s_barrier
	global_load_dwordx4 v[68:71], v[109:110], off offset:1056
	s_add_u32 s0, s8, 0x420
	s_addc_u32 s1, s9, 0
	global_load_dwordx4 v[88:91], v254, s[0:1] offset:176
	global_load_dwordx4 v[92:95], v254, s[0:1] offset:352
	;; [unrolled: 1-line block ×5, first 2 shown]
	ds_read_b128 v[109:112], v252
	ds_read_b128 v[113:116], v252 offset:176
	ds_read_b128 v[117:120], v252 offset:352
	;; [unrolled: 1-line block ×5, first 2 shown]
	s_mov_b32 s0, 0xe8584caa
	s_mov_b32 s1, 0xbfebb67a
	;; [unrolled: 1-line block ×4, first 2 shown]
	s_waitcnt vmcnt(4) lgkmcnt(4)
	v_mul_f64 v[135:136], v[115:116], v[90:91]
	v_mul_f64 v[133:134], v[111:112], v[70:71]
	;; [unrolled: 1-line block ×4, first 2 shown]
	s_waitcnt vmcnt(3) lgkmcnt(3)
	v_mul_f64 v[137:138], v[119:120], v[94:95]
	v_mul_f64 v[94:95], v[117:118], v[94:95]
	s_waitcnt vmcnt(2) lgkmcnt(2)
	v_mul_f64 v[139:140], v[123:124], v[98:99]
	v_mul_f64 v[98:99], v[121:122], v[98:99]
	;; [unrolled: 3-line block ×4, first 2 shown]
	v_fma_f64 v[109:110], v[109:110], v[68:69], -v[133:134]
	v_fma_f64 v[111:112], v[111:112], v[68:69], v[70:71]
	v_fma_f64 v[68:69], v[113:114], v[88:89], -v[135:136]
	v_fma_f64 v[70:71], v[115:116], v[88:89], v[90:91]
	v_fma_f64 v[88:89], v[117:118], v[92:93], -v[137:138]
	v_fma_f64 v[90:91], v[119:120], v[92:93], v[94:95]
	v_fma_f64 v[92:93], v[121:122], v[96:97], -v[139:140]
	v_fma_f64 v[94:95], v[123:124], v[96:97], v[98:99]
	v_fma_f64 v[96:97], v[125:126], v[100:101], -v[141:142]
	v_fma_f64 v[98:99], v[127:128], v[100:101], v[102:103]
	v_fma_f64 v[100:101], v[129:130], v[104:105], -v[143:144]
	v_fma_f64 v[102:103], v[131:132], v[104:105], v[106:107]
	ds_write_b128 v252, v[109:112]
	ds_write_b128 v252, v[68:71] offset:176
	ds_write_b128 v252, v[88:91] offset:352
	;; [unrolled: 1-line block ×5, first 2 shown]
	s_waitcnt lgkmcnt(0)
	s_barrier
	ds_read_b128 v[68:71], v252 offset:352
	ds_read_b128 v[88:91], v252 offset:528
	;; [unrolled: 1-line block ×4, first 2 shown]
	ds_read_b128 v[100:103], v252
	ds_read_b128 v[104:107], v252 offset:176
	s_waitcnt lgkmcnt(0)
	v_add_f64 v[113:114], v[68:69], v[92:93]
	v_add_f64 v[109:110], v[90:91], v[98:99]
	;; [unrolled: 1-line block ×3, first 2 shown]
	v_add_f64 v[121:122], v[88:89], -v[96:97]
	v_add_f64 v[115:116], v[70:71], -v[94:95]
	v_add_f64 v[117:118], v[102:103], v[70:71]
	v_add_f64 v[70:71], v[70:71], v[94:95]
	;; [unrolled: 1-line block ×3, first 2 shown]
	v_add_f64 v[123:124], v[90:91], -v[98:99]
	v_fma_f64 v[109:110], v[109:110], -0.5, v[106:107]
	v_add_f64 v[90:91], v[106:107], v[90:91]
	v_fma_f64 v[104:105], v[119:120], -0.5, v[104:105]
	v_add_f64 v[111:112], v[100:101], v[68:69]
	v_add_f64 v[68:69], v[68:69], -v[92:93]
	v_fma_f64 v[100:101], v[113:114], -0.5, v[100:101]
	v_fma_f64 v[70:71], v[70:71], -0.5, v[102:103]
	v_add_f64 v[88:89], v[88:89], v[96:97]
	v_fma_f64 v[106:107], v[121:122], s[2:3], v[109:110]
	v_fma_f64 v[109:110], v[121:122], s[0:1], v[109:110]
	v_add_f64 v[90:91], v[90:91], v[98:99]
	v_fma_f64 v[96:97], v[123:124], s[0:1], v[104:105]
	v_fma_f64 v[98:99], v[123:124], s[2:3], v[104:105]
	v_add_f64 v[92:93], v[111:112], v[92:93]
	v_add_f64 v[94:95], v[117:118], v[94:95]
	v_fma_f64 v[111:112], v[115:116], s[0:1], v[100:101]
	v_mul_f64 v[102:103], v[106:107], s[0:1]
	v_mul_f64 v[104:105], v[109:110], s[0:1]
	v_mul_f64 v[106:107], v[106:107], 0.5
	v_mul_f64 v[109:110], v[109:110], -0.5
	v_fma_f64 v[113:114], v[115:116], s[2:3], v[100:101]
	v_fma_f64 v[115:116], v[68:69], s[2:3], v[70:71]
	;; [unrolled: 1-line block ×3, first 2 shown]
	v_add_f64 v[68:69], v[92:93], v[88:89]
	v_fma_f64 v[100:101], v[96:97], 0.5, v[102:103]
	v_fma_f64 v[102:103], v[98:99], -0.5, v[104:105]
	v_fma_f64 v[106:107], v[96:97], s[2:3], v[106:107]
	v_fma_f64 v[109:110], v[98:99], s[2:3], v[109:110]
	v_add_f64 v[70:71], v[94:95], v[90:91]
	v_add_f64 v[96:97], v[92:93], -v[88:89]
	v_add_f64 v[98:99], v[94:95], -v[90:91]
	s_barrier
	v_add_f64 v[88:89], v[111:112], v[100:101]
	v_add_f64 v[92:93], v[113:114], v[102:103]
	;; [unrolled: 1-line block ×4, first 2 shown]
	v_add_f64 v[100:101], v[111:112], -v[100:101]
	v_add_f64 v[104:105], v[113:114], -v[102:103]
	;; [unrolled: 1-line block ×4, first 2 shown]
	ds_write_b128 v255, v[68:71]
	ds_write_b128 v255, v[96:99] offset:48
	ds_write_b128 v255, v[88:91] offset:16
	;; [unrolled: 1-line block ×5, first 2 shown]
	s_waitcnt lgkmcnt(0)
	s_barrier
	s_and_saveexec_b64 s[0:1], vcc
	s_cbranch_execz .LBB0_7
; %bb.6:
	ds_read_b128 v[68:71], v252
	ds_read_b128 v[88:91], v252 offset:96
	ds_read_b128 v[92:95], v252 offset:192
	ds_read_b128 v[96:99], v252 offset:288
	ds_read_b128 v[100:103], v252 offset:384
	ds_read_b128 v[104:107], v252 offset:480
	ds_read_b128 v[84:87], v252 offset:576
	ds_read_b128 v[80:83], v252 offset:672
	ds_read_b128 v[76:79], v252 offset:768
	ds_read_b128 v[72:75], v252 offset:864
	ds_read_b128 v[64:67], v252 offset:960
.LBB0_7:
	s_or_b64 exec, exec, s[0:1]
	s_and_saveexec_b64 s[0:1], vcc
	s_cbranch_execz .LBB0_9
; %bb.8:
	s_waitcnt lgkmcnt(5)
	v_mul_f64 v[109:110], v[62:63], v[106:107]
	s_waitcnt lgkmcnt(4)
	v_mul_f64 v[111:112], v[58:59], v[86:87]
	v_mul_f64 v[117:118], v[42:43], v[102:103]
	;; [unrolled: 1-line block ×4, first 2 shown]
	s_waitcnt lgkmcnt(3)
	v_mul_f64 v[119:120], v[54:55], v[82:83]
	s_mov_b32 s20, 0xfd768dbf
	s_mov_b32 s21, 0xbfd207e7
	v_fma_f64 v[62:63], v[60:61], v[104:105], v[109:110]
	v_fma_f64 v[58:59], v[56:57], v[84:85], v[111:112]
	v_mul_f64 v[104:105], v[42:43], v[100:101]
	v_fma_f64 v[84:85], v[40:41], v[100:101], v[117:118]
	v_mul_f64 v[100:101], v[38:39], v[98:99]
	v_mul_f64 v[109:110], v[54:55], v[80:81]
	v_fma_f64 v[54:55], v[56:57], v[86:87], -v[115:116]
	v_fma_f64 v[60:61], v[60:61], v[106:107], -v[113:114]
	s_waitcnt lgkmcnt(2)
	v_mul_f64 v[106:107], v[50:51], v[78:79]
	v_mul_f64 v[111:112], v[30:31], v[88:89]
	v_fma_f64 v[86:87], v[40:41], v[102:103], -v[104:105]
	v_mul_f64 v[104:105], v[50:51], v[76:77]
	v_fma_f64 v[100:101], v[36:37], v[96:97], v[100:101]
	v_mul_f64 v[96:97], v[38:39], v[96:97]
	s_waitcnt lgkmcnt(0)
	v_mul_f64 v[113:114], v[46:47], v[64:65]
	v_fma_f64 v[42:43], v[52:53], v[80:81], v[119:120]
	v_fma_f64 v[56:57], v[52:53], v[82:83], -v[109:110]
	v_fma_f64 v[52:53], v[48:49], v[76:77], v[106:107]
	s_mov_b32 s26, 0xf8bb580b
	s_mov_b32 s18, 0x9bcd5057
	;; [unrolled: 1-line block ×3, first 2 shown]
	v_fma_f64 v[50:51], v[36:37], v[98:99], -v[96:97]
	v_fma_f64 v[36:37], v[48:49], v[78:79], -v[104:105]
	v_mul_f64 v[98:99], v[30:31], v[90:91]
	v_mul_f64 v[104:105], v[46:47], v[66:67]
	;; [unrolled: 1-line block ×6, first 2 shown]
	s_mov_b32 s19, 0xbfeeb42a
	v_add_f64 v[76:77], v[100:101], -v[52:53]
	v_fma_f64 v[115:116], v[28:29], v[88:89], v[98:99]
	v_fma_f64 v[30:31], v[44:45], v[64:65], v[104:105]
	v_fma_f64 v[104:105], v[28:29], v[90:91], -v[111:112]
	v_fma_f64 v[28:29], v[44:45], v[66:67], -v[113:114]
	v_fma_f64 v[78:79], v[24:25], v[92:93], v[78:79]
	v_fma_f64 v[46:47], v[32:33], v[72:73], v[96:97]
	v_fma_f64 v[113:114], v[24:25], v[94:95], -v[26:27]
	v_fma_f64 v[32:33], v[32:33], v[74:75], -v[34:35]
	v_add_f64 v[127:128], v[50:51], -v[36:37]
	v_add_f64 v[111:112], v[115:116], -v[30:31]
	v_add_f64 v[123:124], v[115:116], v[30:31]
	v_add_f64 v[117:118], v[104:105], -v[28:29]
	v_add_f64 v[119:120], v[104:105], v[28:29]
	;; [unrolled: 2-line block ×4, first 2 shown]
	v_mul_f64 v[24:25], v[111:112], s[20:21]
	s_mov_b32 s14, 0xbb3a28a1
	v_mul_f64 v[34:35], v[117:118], s[20:21]
	s_mov_b32 s22, 0x8764f0ba
	;; [unrolled: 2-line block ×4, first 2 shown]
	v_fma_f64 v[64:65], v[119:120], s[18:19], v[24:25]
	v_add_f64 v[82:83], v[84:85], -v[42:43]
	v_fma_f64 v[72:73], v[123:124], s[18:19], -v[34:35]
	v_mul_f64 v[109:110], v[76:77], s[14:15]
	v_add_f64 v[48:49], v[50:51], v[36:37]
	v_fma_f64 v[74:75], v[125:126], s[22:23], v[26:27]
	v_add_f64 v[131:132], v[86:87], -v[56:57]
	v_add_f64 v[133:134], v[100:101], v[52:53]
	v_add_f64 v[64:65], v[70:71], v[64:65]
	v_mul_f64 v[88:89], v[127:128], s[14:15]
	v_fma_f64 v[90:91], v[129:130], s[22:23], -v[66:67]
	v_add_f64 v[72:73], v[68:69], v[72:73]
	v_fma_f64 v[24:25], v[119:120], s[18:19], -v[24:25]
	s_mov_b32 s16, 0x7f775887
	s_mov_b32 s9, 0x3fed1bb4
	;; [unrolled: 1-line block ×4, first 2 shown]
	v_mul_f64 v[106:107], v[82:83], s[8:9]
	v_add_f64 v[38:39], v[86:87], v[56:57]
	v_fma_f64 v[92:93], v[48:49], s[16:17], v[109:110]
	v_add_f64 v[64:65], v[74:75], v[64:65]
	v_add_f64 v[135:136], v[60:61], -v[54:55]
	v_add_f64 v[137:138], v[84:85], v[42:43]
	v_mul_f64 v[74:75], v[131:132], s[8:9]
	v_fma_f64 v[94:95], v[133:134], s[16:17], -v[88:89]
	v_add_f64 v[72:73], v[90:91], v[72:73]
	v_fma_f64 v[26:27], v[125:126], s[22:23], -v[26:27]
	v_add_f64 v[24:25], v[70:71], v[24:25]
	s_mov_b32 s2, 0x43842ef
	s_mov_b32 s10, 0xd9c712b6
	s_mov_b32 s3, 0xbfefac9e
	s_mov_b32 s11, 0x3fda9628
	v_add_f64 v[80:81], v[62:63], -v[58:59]
	v_fma_f64 v[90:91], v[38:39], s[10:11], v[106:107]
	v_add_f64 v[64:65], v[92:93], v[64:65]
	v_add_f64 v[139:140], v[62:63], v[58:59]
	v_mul_f64 v[92:93], v[135:136], s[2:3]
	v_fma_f64 v[96:97], v[137:138], s[10:11], -v[74:75]
	v_add_f64 v[72:73], v[94:95], v[72:73]
	v_fma_f64 v[94:95], v[48:49], s[16:17], -v[109:110]
	v_add_f64 v[24:25], v[26:27], v[24:25]
	s_mov_b32 s24, 0x640f44db
	s_mov_b32 s25, 0xbfc2375f
	v_add_f64 v[40:41], v[60:61], v[54:55]
	v_mul_f64 v[102:103], v[80:81], s[2:3]
	v_add_f64 v[64:65], v[90:91], v[64:65]
	v_fma_f64 v[90:91], v[139:140], s[24:25], -v[92:93]
	v_add_f64 v[72:73], v[96:97], v[72:73]
	v_fma_f64 v[96:97], v[38:39], s[10:11], -v[106:107]
	v_add_f64 v[94:95], v[94:95], v[24:25]
	v_fma_f64 v[34:35], v[123:124], s[18:19], v[34:35]
	v_fma_f64 v[66:67], v[129:130], s[22:23], v[66:67]
	;; [unrolled: 1-line block ×3, first 2 shown]
	s_mov_b32 s31, 0x3fefac9e
	s_mov_b32 s30, s2
	v_add_f64 v[24:25], v[90:91], v[72:73]
	v_fma_f64 v[90:91], v[139:140], s[24:25], v[92:93]
	v_add_f64 v[72:73], v[96:97], v[94:95]
	v_mul_f64 v[92:93], v[111:112], s[14:15]
	v_mul_f64 v[94:95], v[117:118], s[14:15]
	v_add_f64 v[34:35], v[68:69], v[34:35]
	v_add_f64 v[26:27], v[26:27], v[64:65]
	v_fma_f64 v[64:65], v[40:41], s[24:25], -v[102:103]
	v_fma_f64 v[88:89], v[133:134], s[16:17], v[88:89]
	v_mul_f64 v[96:97], v[44:45], s[30:31]
	v_mul_f64 v[102:103], v[121:122], s[30:31]
	v_fma_f64 v[98:99], v[119:120], s[16:17], v[92:93]
	v_fma_f64 v[106:107], v[123:124], s[16:17], -v[94:95]
	v_add_f64 v[34:35], v[66:67], v[34:35]
	s_mov_b32 s29, 0xbfe14ced
	s_mov_b32 s28, s26
	v_mul_f64 v[109:110], v[76:77], s[28:29]
	v_fma_f64 v[141:142], v[125:126], s[24:25], v[96:97]
	v_fma_f64 v[66:67], v[137:138], s[10:11], v[74:75]
	v_add_f64 v[98:99], v[70:71], v[98:99]
	v_mul_f64 v[143:144], v[127:128], s[28:29]
	v_fma_f64 v[74:75], v[129:130], s[24:25], -v[102:103]
	v_add_f64 v[106:107], v[68:69], v[106:107]
	v_add_f64 v[34:35], v[88:89], v[34:35]
	v_fma_f64 v[88:89], v[119:120], s[16:17], -v[92:93]
	v_mul_f64 v[145:146], v[82:83], s[20:21]
	v_fma_f64 v[147:148], v[48:49], s[22:23], v[109:110]
	v_add_f64 v[98:99], v[141:142], v[98:99]
	v_mul_f64 v[92:93], v[131:132], s[20:21]
	v_fma_f64 v[141:142], v[133:134], s[22:23], -v[143:144]
	v_add_f64 v[74:75], v[74:75], v[106:107]
	v_fma_f64 v[96:97], v[125:126], s[24:25], -v[96:97]
	v_add_f64 v[88:89], v[70:71], v[88:89]
	v_mul_f64 v[106:107], v[80:81], s[8:9]
	v_fma_f64 v[149:150], v[38:39], s[18:19], v[145:146]
	v_add_f64 v[98:99], v[147:148], v[98:99]
	v_mul_f64 v[147:148], v[135:136], s[8:9]
	v_fma_f64 v[151:152], v[137:138], s[18:19], -v[92:93]
	v_add_f64 v[74:75], v[141:142], v[74:75]
	v_fma_f64 v[109:110], v[48:49], s[22:23], -v[109:110]
	v_fma_f64 v[94:95], v[123:124], s[16:17], v[94:95]
	v_add_f64 v[88:89], v[96:97], v[88:89]
	v_add_f64 v[34:35], v[66:67], v[34:35]
	v_fma_f64 v[141:142], v[40:41], s[10:11], v[106:107]
	v_add_f64 v[96:97], v[149:150], v[98:99]
	v_fma_f64 v[98:99], v[139:140], s[10:11], -v[147:148]
	v_add_f64 v[149:150], v[151:152], v[74:75]
	v_fma_f64 v[145:146], v[38:39], s[18:19], -v[145:146]
	v_fma_f64 v[102:103], v[129:130], s[24:25], v[102:103]
	v_add_f64 v[94:95], v[68:69], v[94:95]
	v_add_f64 v[88:89], v[109:110], v[88:89]
	;; [unrolled: 1-line block ×6, first 2 shown]
	v_fma_f64 v[34:35], v[40:41], s[10:11], -v[106:107]
	v_fma_f64 v[90:91], v[133:134], s[22:23], v[143:144]
	v_mul_f64 v[96:97], v[111:112], s[2:3]
	v_add_f64 v[94:95], v[102:103], v[94:95]
	v_add_f64 v[88:89], v[145:146], v[88:89]
	v_mul_f64 v[98:99], v[117:118], s[2:3]
	s_mov_b32 s34, s20
	v_fma_f64 v[92:93], v[137:138], s[18:19], v[92:93]
	v_mul_f64 v[102:103], v[44:45], s[34:35]
	v_mul_f64 v[109:110], v[121:122], s[34:35]
	v_fma_f64 v[106:107], v[119:120], s[24:25], v[96:97]
	v_add_f64 v[94:95], v[90:91], v[94:95]
	v_add_f64 v[90:91], v[34:35], v[88:89]
	v_fma_f64 v[88:89], v[123:124], s[24:25], -v[98:99]
	v_mul_f64 v[141:142], v[76:77], s[8:9]
	v_mul_f64 v[145:146], v[127:128], s[8:9]
	v_fma_f64 v[143:144], v[125:126], s[18:19], v[102:103]
	v_fma_f64 v[34:35], v[139:140], s[10:11], v[147:148]
	v_add_f64 v[106:107], v[70:71], v[106:107]
	v_add_f64 v[92:93], v[92:93], v[94:95]
	v_fma_f64 v[94:95], v[119:120], s[24:25], -v[96:97]
	v_fma_f64 v[96:97], v[129:130], s[18:19], -v[109:110]
	v_add_f64 v[88:89], v[68:69], v[88:89]
	v_mul_f64 v[147:148], v[82:83], s[28:29]
	v_fma_f64 v[149:150], v[48:49], s[10:11], v[141:142]
	v_fma_f64 v[102:103], v[125:126], s[18:19], -v[102:103]
	v_add_f64 v[106:107], v[143:144], v[106:107]
	v_mul_f64 v[143:144], v[131:132], s[28:29]
	v_add_f64 v[94:95], v[70:71], v[94:95]
	v_fma_f64 v[151:152], v[133:134], s[10:11], -v[145:146]
	v_add_f64 v[88:89], v[96:97], v[88:89]
	v_mul_f64 v[96:97], v[80:81], s[14:15]
	v_fma_f64 v[153:154], v[38:39], s[22:23], v[147:148]
	v_fma_f64 v[141:142], v[48:49], s[10:11], -v[141:142]
	v_add_f64 v[106:107], v[149:150], v[106:107]
	v_mul_f64 v[149:150], v[135:136], s[14:15]
	v_add_f64 v[94:95], v[102:103], v[94:95]
	v_fma_f64 v[102:103], v[137:138], s[22:23], -v[143:144]
	v_add_f64 v[151:152], v[151:152], v[88:89]
	v_fma_f64 v[98:99], v[123:124], s[24:25], v[98:99]
	v_add_f64 v[88:89], v[34:35], v[92:93]
	v_fma_f64 v[34:35], v[40:41], s[16:17], v[96:97]
	v_add_f64 v[92:93], v[153:154], v[106:107]
	v_fma_f64 v[106:107], v[38:39], s[22:23], -v[147:148]
	v_add_f64 v[94:95], v[141:142], v[94:95]
	v_fma_f64 v[141:142], v[139:140], s[16:17], -v[149:150]
	v_add_f64 v[102:103], v[102:103], v[151:152]
	v_fma_f64 v[109:110], v[129:130], s[18:19], v[109:110]
	v_add_f64 v[98:99], v[68:69], v[98:99]
	v_fma_f64 v[96:97], v[40:41], s[16:17], -v[96:97]
	s_mov_b32 s9, 0xbfed1bb4
	v_mul_f64 v[147:148], v[111:112], s[8:9]
	v_add_f64 v[106:107], v[106:107], v[94:95]
	v_add_f64 v[94:95], v[34:35], v[92:93]
	;; [unrolled: 1-line block ×3, first 2 shown]
	v_fma_f64 v[102:103], v[133:134], s[10:11], v[145:146]
	v_add_f64 v[109:110], v[109:110], v[98:99]
	v_mul_f64 v[34:35], v[117:118], s[8:9]
	v_add_f64 v[104:105], v[70:71], v[104:105]
	v_add_f64 v[115:116], v[68:69], v[115:116]
	;; [unrolled: 1-line block ×3, first 2 shown]
	v_fma_f64 v[96:97], v[137:138], s[22:23], v[143:144]
	v_mul_f64 v[141:142], v[44:45], s[14:15]
	v_fma_f64 v[145:146], v[119:120], s[10:11], v[147:148]
	v_add_f64 v[102:103], v[102:103], v[109:110]
	v_mul_f64 v[106:107], v[121:122], s[14:15]
	v_fma_f64 v[143:144], v[123:124], s[10:11], -v[34:35]
	v_add_f64 v[104:105], v[104:105], v[113:114]
	v_add_f64 v[78:79], v[115:116], v[78:79]
	v_mul_f64 v[151:152], v[76:77], s[34:35]
	v_fma_f64 v[153:154], v[125:126], s[16:17], v[141:142]
	v_add_f64 v[145:146], v[70:71], v[145:146]
	v_add_f64 v[96:97], v[96:97], v[102:103]
	v_fma_f64 v[102:103], v[119:120], s[10:11], -v[147:148]
	v_fma_f64 v[109:110], v[139:140], s[16:17], v[149:150]
	v_mul_f64 v[149:150], v[127:128], s[34:35]
	v_fma_f64 v[155:156], v[129:130], s[16:17], -v[106:107]
	v_add_f64 v[143:144], v[68:69], v[143:144]
	v_fma_f64 v[141:142], v[125:126], s[16:17], -v[141:142]
	v_fma_f64 v[34:35], v[123:124], s[10:11], v[34:35]
	v_add_f64 v[50:51], v[104:105], v[50:51]
	v_add_f64 v[102:103], v[70:71], v[102:103]
	;; [unrolled: 1-line block ×3, first 2 shown]
	v_mul_f64 v[157:158], v[82:83], s[30:31]
	v_fma_f64 v[159:160], v[48:49], s[18:19], v[151:152]
	v_add_f64 v[145:146], v[153:154], v[145:146]
	v_fma_f64 v[153:154], v[133:134], s[18:19], -v[149:150]
	v_add_f64 v[143:144], v[155:156], v[143:144]
	v_mul_f64 v[155:156], v[80:81], s[26:27]
	v_fma_f64 v[151:152], v[48:49], s[18:19], -v[151:152]
	v_add_f64 v[102:103], v[141:142], v[102:103]
	v_mul_f64 v[111:112], v[111:112], s[28:29]
	v_fma_f64 v[106:107], v[129:130], s[16:17], v[106:107]
	v_add_f64 v[34:35], v[68:69], v[34:35]
	v_add_f64 v[50:51], v[50:51], v[86:87]
	;; [unrolled: 1-line block ×3, first 2 shown]
	v_mul_f64 v[147:148], v[131:132], s[30:31]
	v_add_f64 v[143:144], v[153:154], v[143:144]
	v_add_f64 v[96:97], v[109:110], v[96:97]
	v_fma_f64 v[109:110], v[40:41], s[22:23], v[155:156]
	v_fma_f64 v[153:154], v[38:39], s[24:25], -v[157:158]
	v_add_f64 v[102:103], v[151:152], v[102:103]
	v_fma_f64 v[151:152], v[40:41], s[22:23], -v[155:156]
	v_mul_f64 v[44:45], v[44:45], s[8:9]
	v_fma_f64 v[155:156], v[119:120], s[22:23], v[111:112]
	v_fma_f64 v[149:150], v[133:134], s[18:19], v[149:150]
	v_add_f64 v[34:35], v[106:107], v[34:35]
	v_mul_f64 v[86:87], v[117:118], s[28:29]
	v_add_f64 v[50:51], v[50:51], v[60:61]
	v_add_f64 v[60:61], v[78:79], v[62:63]
	v_fma_f64 v[163:164], v[137:138], s[24:25], -v[147:148]
	v_add_f64 v[102:103], v[153:154], v[102:103]
	v_fma_f64 v[106:107], v[125:126], s[10:11], v[44:45]
	v_add_f64 v[113:114], v[70:71], v[155:156]
	v_fma_f64 v[115:116], v[137:138], s[24:25], v[147:148]
	v_add_f64 v[147:148], v[149:150], v[34:35]
	v_fma_f64 v[111:112], v[119:120], s[22:23], -v[111:112]
	v_mul_f64 v[62:63], v[121:122], s[8:9]
	v_fma_f64 v[78:79], v[123:124], s[22:23], v[86:87]
	v_add_f64 v[50:51], v[50:51], v[54:55]
	v_add_f64 v[54:55], v[60:61], v[58:59]
	v_mul_f64 v[76:77], v[76:77], s[2:3]
	v_add_f64 v[34:35], v[151:152], v[102:103]
	v_add_f64 v[102:103], v[106:107], v[113:114]
	;; [unrolled: 1-line block ×3, first 2 shown]
	v_mul_f64 v[115:116], v[127:128], s[2:3]
	v_fma_f64 v[86:87], v[123:124], s[22:23], -v[86:87]
	v_fma_f64 v[44:45], v[125:126], s[10:11], -v[44:45]
	v_add_f64 v[70:71], v[70:71], v[111:112]
	v_fma_f64 v[58:59], v[129:130], s[10:11], v[62:63]
	v_add_f64 v[60:61], v[68:69], v[78:79]
	v_add_f64 v[50:51], v[50:51], v[56:57]
	;; [unrolled: 1-line block ×3, first 2 shown]
	v_mul_f64 v[82:83], v[82:83], s[14:15]
	v_fma_f64 v[100:101], v[48:49], s[24:25], v[76:77]
	v_mul_f64 v[113:114], v[131:132], s[14:15]
	v_fma_f64 v[62:63], v[129:130], s[10:11], -v[62:63]
	v_add_f64 v[68:69], v[68:69], v[86:87]
	v_fma_f64 v[48:49], v[48:49], s[24:25], -v[76:77]
	v_add_f64 v[44:45], v[44:45], v[70:71]
	v_fma_f64 v[54:55], v[133:134], s[24:25], v[115:116]
	v_add_f64 v[56:57], v[58:59], v[60:61]
	v_add_f64 v[36:37], v[50:51], v[36:37]
	;; [unrolled: 1-line block ×3, first 2 shown]
	v_fma_f64 v[161:162], v[38:39], s[24:25], v[157:158]
	v_mul_f64 v[80:81], v[80:81], s[20:21]
	v_fma_f64 v[84:85], v[38:39], s[16:17], v[82:83]
	v_add_f64 v[100:101], v[100:101], v[102:103]
	v_mul_f64 v[102:103], v[135:136], s[20:21]
	v_fma_f64 v[58:59], v[133:134], s[24:25], -v[115:116]
	v_add_f64 v[60:61], v[62:63], v[68:69]
	v_fma_f64 v[38:39], v[38:39], s[16:17], -v[82:83]
	v_add_f64 v[44:45], v[48:49], v[44:45]
	v_fma_f64 v[48:49], v[137:138], s[16:17], v[113:114]
	v_add_f64 v[50:51], v[54:55], v[56:57]
	v_add_f64 v[145:146], v[159:160], v[145:146]
	v_mul_f64 v[159:160], v[135:136], s[26:27]
	v_add_f64 v[32:33], v[36:37], v[32:33]
	v_add_f64 v[36:37], v[42:43], v[46:47]
	v_fma_f64 v[52:53], v[137:138], s[16:17], -v[113:114]
	v_add_f64 v[54:55], v[58:59], v[60:61]
	v_fma_f64 v[56:57], v[40:41], s[18:19], -v[80:81]
	v_add_f64 v[44:45], v[38:39], v[44:45]
	v_fma_f64 v[42:43], v[139:140], s[18:19], v[102:103]
	v_add_f64 v[46:47], v[48:49], v[50:51]
	v_fma_f64 v[104:105], v[139:140], s[22:23], v[159:160]
	v_add_f64 v[38:39], v[32:33], v[28:29]
	v_add_f64 v[36:37], v[36:37], v[30:31]
	;; [unrolled: 1-line block ×3, first 2 shown]
	v_fma_f64 v[145:146], v[139:140], s[22:23], -v[159:160]
	v_add_f64 v[143:144], v[163:164], v[143:144]
	v_fma_f64 v[48:49], v[40:41], s[18:19], v[80:81]
	v_add_f64 v[50:51], v[84:85], v[100:101]
	v_fma_f64 v[58:59], v[139:140], s[18:19], -v[102:103]
	v_add_f64 v[52:53], v[52:53], v[54:55]
	v_add_f64 v[30:31], v[56:57], v[44:45]
	;; [unrolled: 1-line block ×4, first 2 shown]
	ds_write_b128 v252, v[36:39]
	v_lshl_add_u32 v36, v251, 4, v253
	v_add_f64 v[42:43], v[109:110], v[141:142]
	v_add_f64 v[40:41], v[145:146], v[143:144]
	;; [unrolled: 1-line block ×4, first 2 shown]
	ds_write_b128 v36, v[28:31] offset:96
	ds_write_b128 v36, v[32:35] offset:192
	;; [unrolled: 1-line block ×10, first 2 shown]
.LBB0_9:
	s_or_b64 exec, exec, s[0:1]
	s_waitcnt lgkmcnt(0)
	s_barrier
	ds_read_b128 v[24:27], v252
	ds_read_b128 v[28:31], v252 offset:176
	v_mad_u64_u32 v[32:33], s[0:1], s6, v108, 0
	s_mul_i32 s2, s5, 0xb0
	s_waitcnt lgkmcnt(1)
	v_mul_f64 v[34:35], v[22:23], v[26:27]
	v_mul_f64 v[22:23], v[22:23], v[24:25]
	s_mul_hi_u32 s3, s4, 0xb0
	s_add_i32 s2, s3, s2
	s_mul_i32 s3, s4, 0xb0
	v_mad_u64_u32 v[36:37], s[0:1], s7, v108, v[33:34]
	v_mad_u64_u32 v[37:38], s[0:1], s4, v251, 0
	v_fma_f64 v[24:25], v[20:21], v[24:25], v[34:35]
	v_fma_f64 v[22:23], v[20:21], v[26:27], -v[22:23]
	v_mov_b32_e32 v20, v38
	v_mad_u64_u32 v[26:27], s[0:1], s5, v251, v[20:21]
	s_mov_b32 s0, 0xf07c1f08
	s_mov_b32 s1, 0x3f8f07c1
	v_mov_b32_e32 v38, v26
	s_waitcnt lgkmcnt(0)
	v_mul_f64 v[26:27], v[14:15], v[30:31]
	v_mul_f64 v[14:15], v[14:15], v[28:29]
	v_mov_b32_e32 v33, v36
	v_mul_f64 v[20:21], v[24:25], s[0:1]
	v_mul_f64 v[22:23], v[22:23], s[0:1]
	v_lshlrev_b64 v[24:25], 4, v[32:33]
	v_mov_b32_e32 v32, s13
	v_add_co_u32_e32 v33, vcc, s12, v24
	v_fma_f64 v[26:27], v[12:13], v[28:29], v[26:27]
	v_fma_f64 v[28:29], v[12:13], v[30:31], -v[14:15]
	ds_read_b128 v[12:15], v252 offset:352
	v_addc_co_u32_e32 v32, vcc, v32, v25, vcc
	v_lshlrev_b64 v[24:25], 4, v[37:38]
	v_add_co_u32_e32 v30, vcc, v33, v24
	v_addc_co_u32_e32 v31, vcc, v32, v25, vcc
	global_store_dwordx4 v[30:31], v[20:23], off
	s_nop 0
	v_mul_f64 v[20:21], v[26:27], s[0:1]
	ds_read_b128 v[24:27], v252 offset:528
	s_waitcnt lgkmcnt(1)
	v_mul_f64 v[32:33], v[18:19], v[14:15]
	v_mul_f64 v[18:19], v[18:19], v[12:13]
	;; [unrolled: 1-line block ×3, first 2 shown]
	v_mov_b32_e32 v29, s2
	v_add_co_u32_e32 v28, vcc, s3, v30
	v_addc_co_u32_e32 v29, vcc, v31, v29, vcc
	v_fma_f64 v[12:13], v[16:17], v[12:13], v[32:33]
	v_fma_f64 v[14:15], v[16:17], v[14:15], -v[18:19]
	s_waitcnt lgkmcnt(0)
	v_mul_f64 v[16:17], v[6:7], v[26:27]
	v_mul_f64 v[6:7], v[6:7], v[24:25]
	global_store_dwordx4 v[28:29], v[20:23], off
	v_mov_b32_e32 v30, s2
	v_mul_f64 v[12:13], v[12:13], s[0:1]
	v_mul_f64 v[14:15], v[14:15], s[0:1]
	v_fma_f64 v[20:21], v[4:5], v[24:25], v[16:17]
	v_fma_f64 v[22:23], v[4:5], v[26:27], -v[6:7]
	ds_read_b128 v[4:7], v252 offset:704
	ds_read_b128 v[16:19], v252 offset:880
	v_add_co_u32_e32 v24, vcc, s3, v28
	v_addc_co_u32_e32 v25, vcc, v29, v30, vcc
	s_waitcnt lgkmcnt(1)
	v_mul_f64 v[26:27], v[2:3], v[6:7]
	v_mul_f64 v[2:3], v[2:3], v[4:5]
	s_waitcnt lgkmcnt(0)
	v_mul_f64 v[28:29], v[10:11], v[18:19]
	v_mul_f64 v[30:31], v[10:11], v[16:17]
	global_store_dwordx4 v[24:25], v[12:15], off
	v_mul_f64 v[10:11], v[20:21], s[0:1]
	v_mul_f64 v[12:13], v[22:23], s[0:1]
	v_mov_b32_e32 v15, s2
	v_fma_f64 v[4:5], v[0:1], v[4:5], v[26:27]
	v_fma_f64 v[2:3], v[0:1], v[6:7], -v[2:3]
	v_fma_f64 v[6:7], v[8:9], v[16:17], v[28:29]
	v_fma_f64 v[8:9], v[8:9], v[18:19], -v[30:31]
	v_add_co_u32_e32 v14, vcc, s3, v24
	v_addc_co_u32_e32 v15, vcc, v25, v15, vcc
	v_mul_f64 v[0:1], v[4:5], s[0:1]
	v_mul_f64 v[2:3], v[2:3], s[0:1]
	;; [unrolled: 1-line block ×4, first 2 shown]
	global_store_dwordx4 v[14:15], v[10:13], off
	v_add_co_u32_e32 v8, vcc, s3, v14
	v_mov_b32_e32 v10, s2
	v_addc_co_u32_e32 v9, vcc, v15, v10, vcc
	global_store_dwordx4 v[8:9], v[0:3], off
	s_nop 0
	v_mov_b32_e32 v1, s2
	v_add_co_u32_e32 v0, vcc, s3, v8
	v_addc_co_u32_e32 v1, vcc, v9, v1, vcc
	global_store_dwordx4 v[0:1], v[4:7], off
.LBB0_10:
	s_endpgm
	.section	.rodata,"a",@progbits
	.p2align	6, 0x0
	.amdhsa_kernel bluestein_single_back_len66_dim1_dp_op_CI_CI
		.amdhsa_group_segment_fixed_size 24288
		.amdhsa_private_segment_fixed_size 236
		.amdhsa_kernarg_size 104
		.amdhsa_user_sgpr_count 6
		.amdhsa_user_sgpr_private_segment_buffer 1
		.amdhsa_user_sgpr_dispatch_ptr 0
		.amdhsa_user_sgpr_queue_ptr 0
		.amdhsa_user_sgpr_kernarg_segment_ptr 1
		.amdhsa_user_sgpr_dispatch_id 0
		.amdhsa_user_sgpr_flat_scratch_init 0
		.amdhsa_user_sgpr_private_segment_size 0
		.amdhsa_uses_dynamic_stack 0
		.amdhsa_system_sgpr_private_segment_wavefront_offset 1
		.amdhsa_system_sgpr_workgroup_id_x 1
		.amdhsa_system_sgpr_workgroup_id_y 0
		.amdhsa_system_sgpr_workgroup_id_z 0
		.amdhsa_system_sgpr_workgroup_info 0
		.amdhsa_system_vgpr_workitem_id 0
		.amdhsa_next_free_vgpr 256
		.amdhsa_next_free_sgpr 40
		.amdhsa_reserve_vcc 1
		.amdhsa_reserve_flat_scratch 0
		.amdhsa_float_round_mode_32 0
		.amdhsa_float_round_mode_16_64 0
		.amdhsa_float_denorm_mode_32 3
		.amdhsa_float_denorm_mode_16_64 3
		.amdhsa_dx10_clamp 1
		.amdhsa_ieee_mode 1
		.amdhsa_fp16_overflow 0
		.amdhsa_exception_fp_ieee_invalid_op 0
		.amdhsa_exception_fp_denorm_src 0
		.amdhsa_exception_fp_ieee_div_zero 0
		.amdhsa_exception_fp_ieee_overflow 0
		.amdhsa_exception_fp_ieee_underflow 0
		.amdhsa_exception_fp_ieee_inexact 0
		.amdhsa_exception_int_div_zero 0
	.end_amdhsa_kernel
	.text
.Lfunc_end0:
	.size	bluestein_single_back_len66_dim1_dp_op_CI_CI, .Lfunc_end0-bluestein_single_back_len66_dim1_dp_op_CI_CI
                                        ; -- End function
	.section	.AMDGPU.csdata,"",@progbits
; Kernel info:
; codeLenInByte = 10644
; NumSgprs: 44
; NumVgprs: 256
; ScratchSize: 236
; MemoryBound: 0
; FloatMode: 240
; IeeeMode: 1
; LDSByteSize: 24288 bytes/workgroup (compile time only)
; SGPRBlocks: 5
; VGPRBlocks: 63
; NumSGPRsForWavesPerEU: 44
; NumVGPRsForWavesPerEU: 256
; Occupancy: 1
; WaveLimiterHint : 1
; COMPUTE_PGM_RSRC2:SCRATCH_EN: 1
; COMPUTE_PGM_RSRC2:USER_SGPR: 6
; COMPUTE_PGM_RSRC2:TRAP_HANDLER: 0
; COMPUTE_PGM_RSRC2:TGID_X_EN: 1
; COMPUTE_PGM_RSRC2:TGID_Y_EN: 0
; COMPUTE_PGM_RSRC2:TGID_Z_EN: 0
; COMPUTE_PGM_RSRC2:TIDIG_COMP_CNT: 0
	.type	__hip_cuid_650ee512cd8428f5,@object ; @__hip_cuid_650ee512cd8428f5
	.section	.bss,"aw",@nobits
	.globl	__hip_cuid_650ee512cd8428f5
__hip_cuid_650ee512cd8428f5:
	.byte	0                               ; 0x0
	.size	__hip_cuid_650ee512cd8428f5, 1

	.ident	"AMD clang version 19.0.0git (https://github.com/RadeonOpenCompute/llvm-project roc-6.4.0 25133 c7fe45cf4b819c5991fe208aaa96edf142730f1d)"
	.section	".note.GNU-stack","",@progbits
	.addrsig
	.addrsig_sym __hip_cuid_650ee512cd8428f5
	.amdgpu_metadata
---
amdhsa.kernels:
  - .args:
      - .actual_access:  read_only
        .address_space:  global
        .offset:         0
        .size:           8
        .value_kind:     global_buffer
      - .actual_access:  read_only
        .address_space:  global
        .offset:         8
        .size:           8
        .value_kind:     global_buffer
      - .actual_access:  read_only
        .address_space:  global
        .offset:         16
        .size:           8
        .value_kind:     global_buffer
      - .actual_access:  read_only
        .address_space:  global
        .offset:         24
        .size:           8
        .value_kind:     global_buffer
      - .actual_access:  read_only
        .address_space:  global
        .offset:         32
        .size:           8
        .value_kind:     global_buffer
      - .offset:         40
        .size:           8
        .value_kind:     by_value
      - .address_space:  global
        .offset:         48
        .size:           8
        .value_kind:     global_buffer
      - .address_space:  global
        .offset:         56
        .size:           8
        .value_kind:     global_buffer
      - .address_space:  global
        .offset:         64
        .size:           8
        .value_kind:     global_buffer
      - .address_space:  global
        .offset:         72
        .size:           8
        .value_kind:     global_buffer
      - .offset:         80
        .size:           4
        .value_kind:     by_value
      - .address_space:  global
        .offset:         88
        .size:           8
        .value_kind:     global_buffer
      - .address_space:  global
        .offset:         96
        .size:           8
        .value_kind:     global_buffer
    .group_segment_fixed_size: 24288
    .kernarg_segment_align: 8
    .kernarg_segment_size: 104
    .language:       OpenCL C
    .language_version:
      - 2
      - 0
    .max_flat_workgroup_size: 253
    .name:           bluestein_single_back_len66_dim1_dp_op_CI_CI
    .private_segment_fixed_size: 236
    .sgpr_count:     44
    .sgpr_spill_count: 0
    .symbol:         bluestein_single_back_len66_dim1_dp_op_CI_CI.kd
    .uniform_work_group_size: 1
    .uses_dynamic_stack: false
    .vgpr_count:     256
    .vgpr_spill_count: 58
    .wavefront_size: 64
amdhsa.target:   amdgcn-amd-amdhsa--gfx906
amdhsa.version:
  - 1
  - 2
...

	.end_amdgpu_metadata
